;; amdgpu-corpus repo=ROCm/MIOpen kind=compiled arch=gfx906 opt=O3
	.amdgcn_target "amdgcn-amd-amdhsa--gfx906"
	.amdhsa_code_object_version 6
	.text
	.protected	KthvalueFwd             ; -- Begin function KthvalueFwd
	.globl	KthvalueFwd
	.p2align	8
	.type	KthvalueFwd,@function
KthvalueFwd:                            ; @KthvalueFwd
; %bb.0:
	s_load_dwordx4 s[0:3], s[4:5], 0x30
	s_mov_b32 s7, 0
	v_mov_b32_e32 v1, s6
	v_mov_b32_e32 v2, s7
	s_waitcnt lgkmcnt(0)
	v_cmp_le_u64_e32 vcc, s[0:1], v[1:2]
	s_cbranch_vccnz .LBB0_70
; %bb.1:
	s_load_dwordx2 s[18:19], s[4:5], 0x70
	s_load_dwordx8 s[24:31], s[4:5], 0x0
	s_load_dwordx4 s[68:71], s[4:5], 0x20
	s_load_dwordx4 s[0:3], s[4:5], 0x60
	s_mov_b64 s[16:17], 0
	s_waitcnt lgkmcnt(0)
	v_mov_b32_e32 v1, s18
	v_mov_b32_e32 v2, s19
	v_cmp_lt_u64_e32 vcc, s[6:7], v[1:2]
	s_mov_b64 s[20:21], 0
	s_cbranch_vccnz .LBB0_3
; %bb.2:
	v_cvt_f32_u32_e32 v1, s18
	s_sub_i32 s8, 0, s18
	s_mov_b32 s21, 0
	v_rcp_iflag_f32_e32 v1, v1
	v_mul_f32_e32 v1, 0x4f7ffffe, v1
	v_cvt_u32_f32_e32 v1, v1
	v_readfirstlane_b32 s9, v1
	s_mul_i32 s8, s8, s9
	s_mul_hi_u32 s8, s9, s8
	s_add_i32 s9, s9, s8
	s_mul_hi_u32 s8, s6, s9
	s_mul_i32 s10, s8, s18
	s_sub_i32 s10, s6, s10
	s_add_i32 s9, s8, 1
	s_sub_i32 s11, s10, s18
	s_cmp_ge_u32 s10, s18
	s_cselect_b32 s8, s9, s8
	s_cselect_b32 s10, s11, s10
	s_add_i32 s9, s8, 1
	s_cmp_ge_u32 s10, s18
	s_cselect_b32 s20, s9, s8
.LBB0_3:
	s_load_dwordx2 s[72:73], s[4:5], 0x98
	s_load_dwordx8 s[52:59], s[4:5], 0x78
	v_mov_b32_e32 v1, s2
	v_mov_b32_e32 v2, s3
	v_cmp_lt_u64_e32 vcc, s[20:21], v[1:2]
	s_cbranch_vccnz .LBB0_5
; %bb.4:
	v_cvt_f32_u32_e32 v1, s2
	s_sub_i32 s8, 0, s2
	s_mov_b32 s17, 0
	v_rcp_iflag_f32_e32 v1, v1
	v_mul_f32_e32 v1, 0x4f7ffffe, v1
	v_cvt_u32_f32_e32 v1, v1
	v_readfirstlane_b32 s9, v1
	s_mul_i32 s8, s8, s9
	s_mul_hi_u32 s8, s9, s8
	s_add_i32 s9, s9, s8
	s_mul_hi_u32 s8, s20, s9
	s_mul_i32 s10, s8, s2
	s_sub_i32 s10, s20, s10
	s_add_i32 s9, s8, 1
	s_sub_i32 s11, s10, s2
	s_cmp_ge_u32 s10, s2
	s_cselect_b32 s8, s9, s8
	s_cselect_b32 s10, s11, s10
	s_add_i32 s9, s8, 1
	s_cmp_ge_u32 s10, s2
	s_cselect_b32 s16, s9, s8
.LBB0_5:
	s_load_dwordx2 s[34:35], s[4:5], 0xe8
	s_load_dwordx8 s[8:15], s[4:5], 0x38
	v_mov_b32_e32 v2, s1
	v_mov_b32_e32 v1, s0
	v_cmp_lt_u64_e32 vcc, s[16:17], v[1:2]
	s_mov_b64 s[22:23], 0
	s_cbranch_vccnz .LBB0_7
; %bb.6:
	v_cvt_f32_u32_e32 v1, s0
	s_sub_i32 s22, 0, s0
	v_rcp_iflag_f32_e32 v1, v1
	v_mul_f32_e32 v1, 0x4f7ffffe, v1
	v_cvt_u32_f32_e32 v1, v1
	v_readfirstlane_b32 s23, v1
	s_mul_i32 s22, s22, s23
	s_mul_hi_u32 s22, s23, s22
	s_add_i32 s23, s23, s22
	s_mul_hi_u32 s22, s16, s23
	s_mul_i32 s33, s22, s0
	s_sub_i32 s33, s16, s33
	s_add_i32 s23, s22, 1
	s_sub_i32 s36, s33, s0
	s_cmp_ge_u32 s33, s0
	s_cselect_b32 s22, s23, s22
	s_cselect_b32 s33, s36, s33
	s_add_i32 s23, s22, 1
	s_cmp_ge_u32 s33, s0
	s_cselect_b32 s22, s23, s22
.LBB0_7:
	s_load_dwordx16 s[36:51], s[4:5], 0xa8
	s_load_dwordx8 s[60:67], s[4:5], 0xf8
	s_mul_i32 s3, s16, s3
	s_mul_hi_u32 s4, s16, s2
	s_add_i32 s4, s4, s3
	s_mul_i32 s2, s16, s2
	s_sub_u32 s2, s20, s2
	s_subb_u32 s3, s21, s4
	s_mul_i32 s4, s20, s19
	s_mul_hi_u32 s5, s20, s18
	s_add_i32 s5, s5, s4
	s_mul_i32 s4, s20, s18
	s_sub_u32 s18, s6, s4
	s_mul_i32 s1, s22, s1
	s_mul_hi_u32 s4, s22, s0
	s_subb_u32 s19, 0, s5
	s_add_i32 s4, s4, s1
	s_mul_i32 s0, s22, s0
	s_sub_u32 s16, s16, s0
	s_waitcnt lgkmcnt(0)
	s_mul_i32 s0, s22, s9
	s_mul_hi_u32 s1, s22, s8
	s_subb_u32 s4, s17, s4
	s_add_i32 s1, s1, s0
	s_mul_i32 s0, s22, s8
	s_mul_i32 s5, s16, s11
	s_mul_hi_u32 s8, s16, s10
	s_add_i32 s5, s8, s5
	s_mul_i32 s8, s2, s13
	s_mul_hi_u32 s9, s2, s12
	s_add_i32 s8, s9, s8
	s_mul_i32 s3, s3, s12
	s_add_i32 s9, s8, s3
	s_mul_i32 s8, s2, s12
	s_mul_i32 s2, s18, s15
	s_mul_hi_u32 s3, s18, s14
	s_mul_i32 s4, s4, s10
	s_add_i32 s2, s3, s2
	s_mul_i32 s19, s19, s14
	s_add_i32 s5, s5, s4
	s_add_i32 s11, s2, s19
	s_lshl_b64 s[8:9], s[8:9], 2
	s_mul_i32 s4, s16, s10
	s_mul_i32 s10, s18, s14
	s_add_u32 s12, s24, s8
	s_addc_u32 s13, s25, s9
	s_lshl_b64 s[8:9], s[10:11], 2
	s_add_u32 s8, s12, s8
	s_addc_u32 s9, s13, s9
	s_lshl_b64 s[4:5], s[4:5], 2
	v_mov_b32_e32 v2, 0
	s_add_u32 s4, s8, s4
	v_mov_b32_e32 v1, v2
	s_addc_u32 s5, s9, s5
	s_lshl_b64 s[0:1], s[0:1], 2
	v_cmp_gt_u64_e64 s[2:3], s[68:69], v[0:1]
	s_add_u32 s33, s4, s0
	s_movk_i32 s0, 0x80
	v_mov_b32_e32 v13, s30
	v_lshlrev_b32_e32 v19, 5, v0
	s_addc_u32 s81, s5, s1
	v_cmp_gt_u32_e64 s[4:5], s0, v0
	v_cmp_gt_u32_e64 s[8:9], 64, v0
	;; [unrolled: 1-line block ×7, first 2 shown]
	s_mov_b32 s74, 0
	v_cmp_eq_u32_e64 s[0:1], 0, v0
	s_mov_b32 s75, 30
	v_mov_b32_e32 v14, s31
	v_bfrev_b32_e32 v20, 1
	s_mov_b32 s30, 0
                                        ; implicit-def: $vgpr11_vgpr12
                                        ; implicit-def: $vgpr15_vgpr16
	s_branch .LBB0_9
.LBB0_8:                                ;   in Loop: Header=BB0_9 Depth=1
	s_andn2_b64 vcc, exec, s[22:23]
	s_cbranch_vccz .LBB0_45
.LBB0_9:                                ; =>This Loop Header: Depth=1
                                        ;     Child Loop BB0_12 Depth 2
	v_mov_b32_e32 v3, 0
	v_mov_b32_e32 v5, 0
	;; [unrolled: 1-line block ×4, first 2 shown]
	s_mov_b32 s78, s75
	s_mov_b32 s79, s30
	v_mov_b32_e32 v4, 0
	v_mov_b32_e32 v6, 0
	;; [unrolled: 1-line block ×4, first 2 shown]
	s_mov_b32 s80, s74
	s_and_saveexec_b64 s[30:31], s[2:3]
	s_cbranch_execz .LBB0_15
; %bb.10:                               ;   in Loop: Header=BB0_9 Depth=1
	v_mov_b32_e32 v3, v2
	v_mov_b32_e32 v4, v2
	;; [unrolled: 1-line block ×9, first 2 shown]
	s_mov_b64 s[74:75], 0
	v_mov_b32_e32 v9, v8
	v_mov_b32_e32 v8, v7
	;; [unrolled: 1-line block ×8, first 2 shown]
	s_branch .LBB0_12
.LBB0_11:                               ;   in Loop: Header=BB0_12 Depth=2
	s_or_b64 exec, exec, s[76:77]
	v_add_co_u32_e32 v17, vcc, 0x100, v17
	v_addc_co_u32_e32 v18, vcc, 0, v18, vcc
	v_cmp_le_u64_e32 vcc, s[68:69], v[17:18]
	s_or_b64 s[74:75], vcc, s[74:75]
	s_andn2_b64 exec, exec, s[74:75]
	s_cbranch_execz .LBB0_14
.LBB0_12:                               ;   Parent Loop BB0_9 Depth=1
                                        ; =>  This Inner Loop Header: Depth=2
	v_mul_lo_u32 v23, v18, s70
	v_mul_lo_u32 v24, v17, s71
	v_mad_u64_u32 v[21:22], s[20:21], v17, s70, 0
	v_add3_u32 v22, v22, v24, v23
	v_lshlrev_b64 v[21:22], 2, v[21:22]
	v_mov_b32_e32 v23, s81
	v_add_co_u32_e32 v21, vcc, s33, v21
	v_addc_co_u32_e32 v22, vcc, v23, v22, vcc
	global_load_dword v21, v[21:22], off
	s_waitcnt vmcnt(0)
	v_cmp_lt_i32_e32 vcc, -1, v21
	v_cndmask_b32_e32 v22, -1, v20, vcc
	v_xor_b32_e32 v22, v22, v21
	v_cmp_o_f32_e32 vcc, v21, v21
	v_cndmask_b32_e32 v21, -1, v22, vcc
	v_and_b32_e32 v22, s80, v21
	v_cmp_eq_u32_e32 vcc, s79, v22
	s_and_saveexec_b64 s[76:77], vcc
	s_cbranch_execz .LBB0_11
; %bb.13:                               ;   in Loop: Header=BB0_12 Depth=2
	v_lshrrev_b32_e32 v21, s78, v21
	v_and_b32_e32 v21, 3, v21
	v_cmp_eq_u32_e32 vcc, 1, v21
	v_cmp_eq_u32_e64 s[20:21], 2, v21
	v_cndmask_b32_e32 v23, v3, v5, vcc
	v_cndmask_b32_e32 v22, v4, v6, vcc
	v_cmp_eq_u32_e64 s[22:23], 3, v21
	v_cndmask_b32_e64 v23, v23, v7, s[20:21]
	v_cndmask_b32_e64 v22, v22, v8, s[20:21]
	v_cndmask_b32_e64 v23, v23, v9, s[22:23]
	v_cndmask_b32_e64 v22, v22, v10, s[22:23]
	v_add_co_u32_e64 v23, s[24:25], 1, v23
	v_addc_co_u32_e64 v22, s[24:25], 0, v22, s[24:25]
	v_cndmask_b32_e32 v6, v6, v22, vcc
	v_cndmask_b32_e32 v5, v5, v23, vcc
	v_cmp_eq_u32_e32 vcc, 0, v21
	v_cndmask_b32_e64 v10, v10, v22, s[22:23]
	v_cndmask_b32_e64 v9, v9, v23, s[22:23]
	;; [unrolled: 1-line block ×4, first 2 shown]
	v_cndmask_b32_e32 v4, v4, v22, vcc
	v_cndmask_b32_e32 v3, v3, v23, vcc
	s_branch .LBB0_11
.LBB0_14:                               ;   in Loop: Header=BB0_9 Depth=1
	s_or_b64 exec, exec, s[74:75]
.LBB0_15:                               ;   in Loop: Header=BB0_9 Depth=1
	s_or_b64 exec, exec, s[30:31]
	ds_write_b128 v19, v[3:6]
	ds_write_b128 v19, v[7:10] offset:16
	s_waitcnt lgkmcnt(0)
	s_barrier
	s_and_saveexec_b64 s[20:21], s[4:5]
	s_cbranch_execz .LBB0_17
; %bb.16:                               ;   in Loop: Header=BB0_9 Depth=1
	ds_read_b128 v[3:6], v19 offset:4096
	ds_read_b128 v[7:10], v19
	ds_read_b128 v[21:24], v19 offset:16
	ds_read_b128 v[25:28], v19 offset:4112
	s_waitcnt lgkmcnt(2)
	v_add_co_u32_e32 v3, vcc, v7, v3
	v_addc_co_u32_e32 v4, vcc, v8, v4, vcc
	v_add_co_u32_e32 v5, vcc, v9, v5
	v_addc_co_u32_e32 v6, vcc, v10, v6, vcc
	ds_write_b128 v19, v[3:6]
	s_waitcnt lgkmcnt(1)
	v_add_co_u32_e32 v3, vcc, v21, v25
	v_addc_co_u32_e32 v4, vcc, v22, v26, vcc
	v_add_co_u32_e32 v5, vcc, v23, v27
	v_addc_co_u32_e32 v6, vcc, v24, v28, vcc
	ds_write_b128 v19, v[3:6] offset:16
.LBB0_17:                               ;   in Loop: Header=BB0_9 Depth=1
	s_or_b64 exec, exec, s[20:21]
	s_waitcnt lgkmcnt(0)
	s_barrier
	s_and_saveexec_b64 s[20:21], s[8:9]
	s_cbranch_execz .LBB0_19
; %bb.18:                               ;   in Loop: Header=BB0_9 Depth=1
	ds_read_b128 v[3:6], v19 offset:2048
	ds_read_b128 v[7:10], v19
	ds_read_b128 v[21:24], v19 offset:16
	ds_read_b128 v[25:28], v19 offset:2064
	s_waitcnt lgkmcnt(2)
	v_add_co_u32_e32 v3, vcc, v7, v3
	v_addc_co_u32_e32 v4, vcc, v8, v4, vcc
	v_add_co_u32_e32 v5, vcc, v9, v5
	v_addc_co_u32_e32 v6, vcc, v10, v6, vcc
	ds_write_b128 v19, v[3:6]
	s_waitcnt lgkmcnt(1)
	v_add_co_u32_e32 v3, vcc, v21, v25
	v_addc_co_u32_e32 v4, vcc, v22, v26, vcc
	v_add_co_u32_e32 v5, vcc, v23, v27
	v_addc_co_u32_e32 v6, vcc, v24, v28, vcc
	ds_write_b128 v19, v[3:6] offset:16
.LBB0_19:                               ;   in Loop: Header=BB0_9 Depth=1
	s_or_b64 exec, exec, s[20:21]
	s_waitcnt lgkmcnt(0)
	s_barrier
	s_and_saveexec_b64 s[20:21], s[10:11]
	s_cbranch_execz .LBB0_21
; %bb.20:                               ;   in Loop: Header=BB0_9 Depth=1
	ds_read_b128 v[3:6], v19 offset:1024
	ds_read_b128 v[7:10], v19
	ds_read_b128 v[21:24], v19 offset:16
	ds_read_b128 v[25:28], v19 offset:1040
	s_waitcnt lgkmcnt(2)
	v_add_co_u32_e32 v3, vcc, v7, v3
	v_addc_co_u32_e32 v4, vcc, v8, v4, vcc
	v_add_co_u32_e32 v5, vcc, v9, v5
	v_addc_co_u32_e32 v6, vcc, v10, v6, vcc
	ds_write_b128 v19, v[3:6]
	s_waitcnt lgkmcnt(1)
	v_add_co_u32_e32 v3, vcc, v21, v25
	v_addc_co_u32_e32 v4, vcc, v22, v26, vcc
	v_add_co_u32_e32 v5, vcc, v23, v27
	v_addc_co_u32_e32 v6, vcc, v24, v28, vcc
	ds_write_b128 v19, v[3:6] offset:16
.LBB0_21:                               ;   in Loop: Header=BB0_9 Depth=1
	s_or_b64 exec, exec, s[20:21]
	s_waitcnt lgkmcnt(0)
	s_barrier
	s_and_saveexec_b64 s[20:21], s[12:13]
	s_cbranch_execz .LBB0_23
; %bb.22:                               ;   in Loop: Header=BB0_9 Depth=1
	ds_read_b128 v[3:6], v19 offset:512
	ds_read_b128 v[7:10], v19
	ds_read_b128 v[21:24], v19 offset:16
	ds_read_b128 v[25:28], v19 offset:528
	s_waitcnt lgkmcnt(2)
	v_add_co_u32_e32 v3, vcc, v7, v3
	v_addc_co_u32_e32 v4, vcc, v8, v4, vcc
	v_add_co_u32_e32 v5, vcc, v9, v5
	v_addc_co_u32_e32 v6, vcc, v10, v6, vcc
	ds_write_b128 v19, v[3:6]
	s_waitcnt lgkmcnt(1)
	v_add_co_u32_e32 v3, vcc, v21, v25
	v_addc_co_u32_e32 v4, vcc, v22, v26, vcc
	v_add_co_u32_e32 v5, vcc, v23, v27
	v_addc_co_u32_e32 v6, vcc, v24, v28, vcc
	ds_write_b128 v19, v[3:6] offset:16
.LBB0_23:                               ;   in Loop: Header=BB0_9 Depth=1
	s_or_b64 exec, exec, s[20:21]
	s_waitcnt lgkmcnt(0)
	s_barrier
	s_and_saveexec_b64 s[20:21], s[14:15]
	s_cbranch_execz .LBB0_25
; %bb.24:                               ;   in Loop: Header=BB0_9 Depth=1
	ds_read_b128 v[3:6], v19 offset:256
	ds_read_b128 v[7:10], v19
	ds_read_b128 v[21:24], v19 offset:16
	ds_read_b128 v[25:28], v19 offset:272
	s_waitcnt lgkmcnt(2)
	v_add_co_u32_e32 v3, vcc, v7, v3
	v_addc_co_u32_e32 v4, vcc, v8, v4, vcc
	v_add_co_u32_e32 v5, vcc, v9, v5
	v_addc_co_u32_e32 v6, vcc, v10, v6, vcc
	ds_write_b128 v19, v[3:6]
	s_waitcnt lgkmcnt(1)
	v_add_co_u32_e32 v3, vcc, v21, v25
	v_addc_co_u32_e32 v4, vcc, v22, v26, vcc
	v_add_co_u32_e32 v5, vcc, v23, v27
	v_addc_co_u32_e32 v6, vcc, v24, v28, vcc
	ds_write_b128 v19, v[3:6] offset:16
.LBB0_25:                               ;   in Loop: Header=BB0_9 Depth=1
	s_or_b64 exec, exec, s[20:21]
	s_waitcnt lgkmcnt(0)
	s_barrier
	s_and_saveexec_b64 s[20:21], s[16:17]
	s_cbranch_execz .LBB0_27
; %bb.26:                               ;   in Loop: Header=BB0_9 Depth=1
	ds_read_b128 v[3:6], v19 offset:128
	ds_read_b128 v[7:10], v19
	ds_read_b128 v[21:24], v19 offset:16
	ds_read_b128 v[25:28], v19 offset:144
	s_waitcnt lgkmcnt(2)
	v_add_co_u32_e32 v3, vcc, v7, v3
	v_addc_co_u32_e32 v4, vcc, v8, v4, vcc
	v_add_co_u32_e32 v5, vcc, v9, v5
	v_addc_co_u32_e32 v6, vcc, v10, v6, vcc
	ds_write_b128 v19, v[3:6]
	s_waitcnt lgkmcnt(1)
	v_add_co_u32_e32 v3, vcc, v21, v25
	v_addc_co_u32_e32 v4, vcc, v22, v26, vcc
	v_add_co_u32_e32 v5, vcc, v23, v27
	v_addc_co_u32_e32 v6, vcc, v24, v28, vcc
	ds_write_b128 v19, v[3:6] offset:16
.LBB0_27:                               ;   in Loop: Header=BB0_9 Depth=1
	s_or_b64 exec, exec, s[20:21]
	s_waitcnt lgkmcnt(0)
	s_barrier
	s_and_saveexec_b64 s[20:21], s[18:19]
	s_cbranch_execz .LBB0_29
; %bb.28:                               ;   in Loop: Header=BB0_9 Depth=1
	ds_read_b128 v[3:6], v19 offset:64
	ds_read_b128 v[7:10], v19
	ds_read_b128 v[21:24], v19 offset:16
	ds_read_b128 v[25:28], v19 offset:80
	s_waitcnt lgkmcnt(2)
	v_add_co_u32_e32 v3, vcc, v7, v3
	v_addc_co_u32_e32 v4, vcc, v8, v4, vcc
	v_add_co_u32_e32 v5, vcc, v9, v5
	v_addc_co_u32_e32 v6, vcc, v10, v6, vcc
	ds_write_b128 v19, v[3:6]
	s_waitcnt lgkmcnt(1)
	v_add_co_u32_e32 v3, vcc, v21, v25
	v_addc_co_u32_e32 v4, vcc, v22, v26, vcc
	v_add_co_u32_e32 v5, vcc, v23, v27
	v_addc_co_u32_e32 v6, vcc, v24, v28, vcc
	ds_write_b128 v19, v[3:6] offset:16
.LBB0_29:                               ;   in Loop: Header=BB0_9 Depth=1
	s_or_b64 exec, exec, s[20:21]
	s_waitcnt lgkmcnt(0)
	s_barrier
	s_and_saveexec_b64 s[20:21], s[0:1]
	s_cbranch_execz .LBB0_31
; %bb.30:                               ;   in Loop: Header=BB0_9 Depth=1
	ds_read_b128 v[3:6], v19 offset:32
	ds_read_b128 v[7:10], v19
	ds_read_b128 v[21:24], v19 offset:16
	ds_read_b128 v[25:28], v19 offset:48
	s_waitcnt lgkmcnt(2)
	v_add_co_u32_e32 v3, vcc, v7, v3
	v_addc_co_u32_e32 v4, vcc, v8, v4, vcc
	v_add_co_u32_e32 v5, vcc, v9, v5
	v_addc_co_u32_e32 v6, vcc, v10, v6, vcc
	ds_write_b128 v19, v[3:6]
	s_waitcnt lgkmcnt(1)
	v_add_co_u32_e32 v3, vcc, v21, v25
	v_addc_co_u32_e32 v4, vcc, v22, v26, vcc
	v_add_co_u32_e32 v5, vcc, v23, v27
	v_addc_co_u32_e32 v6, vcc, v24, v28, vcc
	ds_write_b128 v19, v[3:6] offset:16
.LBB0_31:                               ;   in Loop: Header=BB0_9 Depth=1
	s_or_b64 exec, exec, s[20:21]
	s_waitcnt lgkmcnt(0)
	s_barrier
	ds_read_b128 v[3:6], v2
	ds_read_b128 v[7:10], v2 offset:16
	s_mov_b64 s[24:25], 0
	s_mov_b64 s[22:23], 0
	;; [unrolled: 1-line block ×3, first 2 shown]
	s_waitcnt lgkmcnt(1)
	v_cmp_le_u64_e64 s[30:31], v[13:14], v[3:4]
	s_waitcnt lgkmcnt(0)
	s_and_b64 vcc, exec, s[30:31]
	s_barrier
	s_cbranch_vccnz .LBB0_38
; %bb.32:                               ;   in Loop: Header=BB0_9 Depth=1
	v_sub_co_u32_e32 v13, vcc, v13, v3
	v_subb_co_u32_e32 v14, vcc, v14, v4, vcc
	v_cmp_gt_u64_e32 vcc, v[13:14], v[5:6]
	v_cmp_le_u64_e64 s[30:31], v[13:14], v[5:6]
	s_cbranch_vccz .LBB0_35
; %bb.33:                               ;   in Loop: Header=BB0_9 Depth=1
	v_sub_co_u32_e32 v13, vcc, v13, v5
	v_subb_co_u32_e32 v14, vcc, v14, v6, vcc
	v_cmp_gt_u64_e32 vcc, v[13:14], v[7:8]
	v_cmp_le_u64_e64 s[30:31], v[13:14], v[7:8]
	s_cbranch_vccz .LBB0_36
; %bb.34:                               ;   in Loop: Header=BB0_9 Depth=1
	v_sub_co_u32_e32 v11, vcc, v13, v7
	v_subb_co_u32_e32 v12, vcc, v14, v8, vcc
	v_mov_b32_e32 v16, v10
	v_mov_b32_e32 v14, v12
	v_mov_b32_e32 v5, v9
	v_cmp_le_u64_e64 s[30:31], v[11:12], v[9:10]
	s_mov_b64 s[24:25], -1
	s_mov_b64 s[20:21], 3
	v_mov_b32_e32 v15, v9
	v_mov_b32_e32 v13, v11
	;; [unrolled: 1-line block ×3, first 2 shown]
	s_branch .LBB0_37
.LBB0_35:                               ;   in Loop: Header=BB0_9 Depth=1
	s_mov_b64 s[20:21], 1
	s_branch .LBB0_37
.LBB0_36:                               ;   in Loop: Header=BB0_9 Depth=1
	v_mov_b32_e32 v5, v7
	s_mov_b64 s[20:21], 2
	v_mov_b32_e32 v6, v8
.LBB0_37:                               ;   in Loop: Header=BB0_9 Depth=1
	v_mov_b32_e32 v3, v5
	v_mov_b32_e32 v4, v6
.LBB0_38:                               ;   in Loop: Header=BB0_9 Depth=1
	s_and_b64 vcc, exec, s[30:31]
                                        ; implicit-def: $sgpr30
                                        ; implicit-def: $sgpr74
	s_cbranch_vccz .LBB0_41
; %bb.39:                               ;   in Loop: Header=BB0_9 Depth=1
	v_cmp_ne_u64_e32 vcc, 1, v[3:4]
	s_cmp_lg_u32 s78, 0
	s_cselect_b64 s[22:23], -1, 0
	s_and_b64 s[22:23], s[22:23], vcc
	s_mov_b64 s[24:25], 0
	s_and_b64 vcc, exec, s[22:23]
	s_mov_b64 s[22:23], 0
                                        ; implicit-def: $sgpr74
                                        ; implicit-def: $sgpr30
	s_cbranch_vccz .LBB0_41
; %bb.40:                               ;   in Loop: Header=BB0_9 Depth=1
	s_lshl_b32 s22, s20, s78
	s_or_b32 s30, s22, s79
	s_lshl_b32 s22, 3, s78
	s_or_b32 s74, s22, s80
	s_mov_b64 s[22:23], -1
.LBB0_41:                               ;   in Loop: Header=BB0_9 Depth=1
	s_and_b64 vcc, exec, s[24:25]
	s_cbranch_vccz .LBB0_43
; %bb.42:                               ;   in Loop: Header=BB0_9 Depth=1
	v_sub_co_u32_e32 v13, vcc, v11, v15
	v_subb_co_u32_e32 v14, vcc, v12, v16, vcc
	s_mov_b64 s[22:23], -1
	s_mov_b32 s30, s79
	s_mov_b32 s74, s80
.LBB0_43:                               ;   in Loop: Header=BB0_9 Depth=1
	s_mov_b64 s[24:25], -1
	s_andn2_b64 vcc, exec, s[22:23]
	s_mov_b64 s[22:23], -1
                                        ; implicit-def: $sgpr75
	s_cbranch_vccnz .LBB0_8
; %bb.44:                               ;   in Loop: Header=BB0_9 Depth=1
	s_add_i32 s75, s78, -2
	s_cmp_eq_u32 s78, 0
	s_mov_b64 s[24:25], 0
	s_cselect_b64 s[22:23], -1, 0
	s_branch .LBB0_8
.LBB0_45:
	s_and_b64 vcc, exec, s[24:25]
	s_cbranch_vccz .LBB0_52
; %bb.46:
	s_and_saveexec_b64 s[4:5], s[2:3]
	s_cbranch_execz .LBB0_51
; %bb.47:
	s_mov_b64 s[8:9], 0
	v_mov_b32_e32 v4, s81
	v_bfrev_b32_e32 v5, 1
	v_mov_b32_e32 v3, 0
	s_branch .LBB0_49
.LBB0_48:                               ;   in Loop: Header=BB0_49 Depth=1
	s_or_b64 exec, exec, s[2:3]
	v_add_co_u32_e32 v0, vcc, 0x100, v0
	v_addc_co_u32_e32 v1, vcc, 0, v1, vcc
	v_cmp_le_u64_e32 vcc, s[68:69], v[0:1]
	s_or_b64 s[8:9], vcc, s[8:9]
	s_andn2_b64 exec, exec, s[8:9]
	s_cbranch_execz .LBB0_51
.LBB0_49:                               ; =>This Inner Loop Header: Depth=1
	v_mul_lo_u32 v2, v1, s70
	v_mul_lo_u32 v8, v0, s71
	v_mad_u64_u32 v[6:7], s[2:3], v0, s70, 0
	v_add3_u32 v7, v7, v8, v2
	v_lshlrev_b64 v[6:7], 2, v[6:7]
	v_add_co_u32_e32 v6, vcc, s33, v6
	v_addc_co_u32_e32 v7, vcc, v4, v7, vcc
	global_load_dword v6, v[6:7], off
	s_waitcnt vmcnt(0)
	v_cmp_lt_i32_e32 vcc, -1, v6
	v_cndmask_b32_e32 v2, -1, v5, vcc
	v_xor_b32_e32 v2, v2, v6
	v_cmp_o_f32_e32 vcc, v6, v6
	v_cndmask_b32_e32 v2, -1, v2, vcc
	v_and_b32_e32 v7, s80, v2
	v_bfe_u32 v2, v2, s78, 2
	v_cmp_eq_u64_e32 vcc, s[20:21], v[2:3]
	v_cmp_eq_u32_e64 s[2:3], s79, v7
	s_and_b64 s[10:11], s[2:3], vcc
	s_and_saveexec_b64 s[2:3], s[10:11]
	s_cbranch_execz .LBB0_48
; %bb.50:                               ;   in Loop: Header=BB0_49 Depth=1
	ds_write_b32 v3, v6 offset:8200
	ds_write_b64 v3, v[0:1] offset:8192
	s_branch .LBB0_48
.LBB0_51:
	s_or_b64 exec, exec, s[4:5]
.LBB0_52:
	s_waitcnt lgkmcnt(0)
	s_barrier
	s_and_saveexec_b64 s[2:3], s[0:1]
	s_cbranch_execz .LBB0_70
; %bb.53:
	v_mov_b32_e32 v0, s42
	v_mov_b32_e32 v1, s43
	v_cmp_lt_u64_e32 vcc, s[6:7], v[0:1]
	s_mov_b64 s[2:3], 0
	s_mov_b64 s[0:1], 0
	s_cbranch_vccnz .LBB0_55
; %bb.54:
	v_cvt_f32_u32_e32 v0, s42
	s_sub_i32 s0, 0, s42
	s_mov_b32 s1, 0
	v_rcp_iflag_f32_e32 v0, v0
	v_mul_f32_e32 v0, 0x4f7ffffe, v0
	v_cvt_u32_f32_e32 v0, v0
	v_readfirstlane_b32 s4, v0
	s_mul_i32 s0, s0, s4
	s_mul_hi_u32 s0, s4, s0
	s_add_i32 s4, s4, s0
	s_mul_hi_u32 s0, s6, s4
	s_mul_i32 s5, s0, s42
	s_sub_i32 s5, s6, s5
	s_add_i32 s4, s0, 1
	s_sub_i32 s8, s5, s42
	s_cmp_ge_u32 s5, s42
	s_cselect_b32 s0, s4, s0
	s_cselect_b32 s5, s8, s5
	s_add_i32 s4, s0, 1
	s_cmp_ge_u32 s5, s42
	s_cselect_b32 s0, s4, s0
.LBB0_55:
	v_mov_b32_e32 v0, s40
	v_mov_b32_e32 v1, s41
	v_cmp_lt_u64_e32 vcc, s[0:1], v[0:1]
	s_cbranch_vccnz .LBB0_57
; %bb.56:
	v_cvt_f32_u32_e32 v0, s40
	s_sub_i32 s2, 0, s40
	s_mov_b32 s3, 0
	v_rcp_iflag_f32_e32 v0, v0
	v_mul_f32_e32 v0, 0x4f7ffffe, v0
	v_cvt_u32_f32_e32 v0, v0
	v_readfirstlane_b32 s4, v0
	s_mul_i32 s2, s2, s4
	s_mul_hi_u32 s2, s4, s2
	s_add_i32 s4, s4, s2
	s_mul_hi_u32 s2, s0, s4
	s_mul_i32 s5, s2, s40
	s_sub_i32 s5, s0, s5
	s_add_i32 s4, s2, 1
	s_sub_i32 s8, s5, s40
	s_cmp_ge_u32 s5, s40
	s_cselect_b32 s2, s4, s2
	s_cselect_b32 s5, s8, s5
	s_add_i32 s4, s2, 1
	s_cmp_ge_u32 s5, s40
	s_cselect_b32 s2, s4, s2
.LBB0_57:
	v_mov_b32_e32 v0, s38
	v_mov_b32_e32 v1, s39
	v_cmp_lt_u64_e32 vcc, s[2:3], v[0:1]
	s_mov_b64 s[4:5], 0
	s_mov_b64 s[8:9], 0
	s_cbranch_vccnz .LBB0_59
; %bb.58:
	v_cvt_f32_u32_e32 v0, s38
	s_sub_i32 s5, 0, s38
	s_mov_b32 s9, 0
	v_rcp_iflag_f32_e32 v0, v0
	v_mul_f32_e32 v0, 0x4f7ffffe, v0
	v_cvt_u32_f32_e32 v0, v0
	v_readfirstlane_b32 s8, v0
	s_mul_i32 s5, s5, s8
	s_mul_hi_u32 s5, s8, s5
	s_add_i32 s8, s8, s5
	s_mul_hi_u32 s5, s2, s8
	s_mul_i32 s10, s5, s38
	s_sub_i32 s10, s2, s10
	s_add_i32 s8, s5, 1
	s_sub_i32 s11, s10, s38
	s_cmp_ge_u32 s10, s38
	s_cselect_b32 s5, s8, s5
	s_cselect_b32 s10, s11, s10
	s_add_i32 s8, s5, 1
	s_cmp_ge_u32 s10, s38
	s_cselect_b32 s8, s8, s5
.LBB0_59:
	v_mov_b32_e32 v0, s36
	v_mov_b32_e32 v1, s37
	v_cmp_lt_u64_e32 vcc, s[8:9], v[0:1]
	s_cbranch_vccnz .LBB0_61
; %bb.60:
	v_cvt_f32_u32_e32 v0, s36
	s_sub_i32 s4, 0, s36
	v_rcp_iflag_f32_e32 v0, v0
	v_mul_f32_e32 v0, 0x4f7ffffe, v0
	v_cvt_u32_f32_e32 v0, v0
	v_readfirstlane_b32 s5, v0
	s_mul_i32 s4, s4, s5
	s_mul_hi_u32 s4, s5, s4
	s_add_i32 s5, s5, s4
	s_mul_hi_u32 s4, s8, s5
	s_mul_i32 s10, s4, s36
	s_sub_i32 s10, s8, s10
	s_add_i32 s5, s4, 1
	s_sub_i32 s11, s10, s36
	s_cmp_ge_u32 s10, s36
	s_cselect_b32 s4, s5, s4
	s_cselect_b32 s10, s11, s10
	s_add_i32 s5, s4, 1
	s_cmp_ge_u32 s10, s36
	s_cselect_b32 s4, s5, s4
.LBB0_61:
	v_mov_b32_e32 v0, s66
	v_mov_b32_e32 v1, s67
	v_cmp_lt_u64_e32 vcc, s[6:7], v[0:1]
	s_mov_b64 s[14:15], 0
	s_mov_b64 s[12:13], 0
	s_cbranch_vccnz .LBB0_63
; %bb.62:
	v_cvt_f32_u32_e32 v0, s66
	s_sub_i32 s5, 0, s66
	s_mov_b32 s13, 0
	v_rcp_iflag_f32_e32 v0, v0
	v_mul_f32_e32 v0, 0x4f7ffffe, v0
	v_cvt_u32_f32_e32 v0, v0
	v_readfirstlane_b32 s7, v0
	s_mul_i32 s5, s5, s7
	s_mul_hi_u32 s5, s7, s5
	s_add_i32 s7, s7, s5
	s_mul_hi_u32 s5, s6, s7
	s_mul_i32 s10, s5, s66
	s_sub_i32 s10, s6, s10
	s_add_i32 s7, s5, 1
	s_sub_i32 s11, s10, s66
	s_cmp_ge_u32 s10, s66
	s_cselect_b32 s5, s7, s5
	s_cselect_b32 s10, s11, s10
	s_add_i32 s7, s5, 1
	s_cmp_ge_u32 s10, s66
	s_cselect_b32 s12, s7, s5
.LBB0_63:
	v_mov_b32_e32 v0, s64
	v_mov_b32_e32 v1, s65
	v_cmp_lt_u64_e32 vcc, s[12:13], v[0:1]
	s_cbranch_vccnz .LBB0_65
; %bb.64:
	v_cvt_f32_u32_e32 v0, s64
	s_sub_i32 s5, 0, s64
	s_mov_b32 s15, 0
	v_rcp_iflag_f32_e32 v0, v0
	v_mul_f32_e32 v0, 0x4f7ffffe, v0
	v_cvt_u32_f32_e32 v0, v0
	v_readfirstlane_b32 s7, v0
	s_mul_i32 s5, s5, s7
	s_mul_hi_u32 s5, s7, s5
	s_add_i32 s7, s7, s5
	s_mul_hi_u32 s5, s12, s7
	s_mul_i32 s10, s5, s64
	s_sub_i32 s10, s12, s10
	s_add_i32 s7, s5, 1
	s_sub_i32 s11, s10, s64
	s_cmp_ge_u32 s10, s64
	s_cselect_b32 s5, s7, s5
	s_cselect_b32 s10, s11, s10
	s_add_i32 s7, s5, 1
	s_cmp_ge_u32 s10, s64
	s_cselect_b32 s14, s7, s5
.LBB0_65:
	v_mov_b32_e32 v0, s62
	v_mov_b32_e32 v1, s63
	v_cmp_lt_u64_e32 vcc, s[14:15], v[0:1]
	s_mov_b64 s[10:11], 0
	s_mov_b64 s[16:17], 0
	s_cbranch_vccnz .LBB0_67
; %bb.66:
	v_cvt_f32_u32_e32 v0, s62
	s_sub_i32 s5, 0, s62
	s_mov_b32 s17, 0
	v_rcp_iflag_f32_e32 v0, v0
	v_mul_f32_e32 v0, 0x4f7ffffe, v0
	v_cvt_u32_f32_e32 v0, v0
	v_readfirstlane_b32 s7, v0
	s_mul_i32 s5, s5, s7
	s_mul_hi_u32 s5, s7, s5
	s_add_i32 s7, s7, s5
	s_mul_hi_u32 s5, s14, s7
	s_mul_i32 s11, s5, s62
	s_sub_i32 s11, s14, s11
	s_add_i32 s7, s5, 1
	s_sub_i32 s16, s11, s62
	s_cmp_ge_u32 s11, s62
	s_cselect_b32 s5, s7, s5
	s_cselect_b32 s11, s16, s11
	s_add_i32 s7, s5, 1
	s_cmp_ge_u32 s11, s62
	s_cselect_b32 s16, s7, s5
.LBB0_67:
	v_mov_b32_e32 v0, s60
	v_mov_b32_e32 v1, s61
	v_cmp_lt_u64_e32 vcc, s[16:17], v[0:1]
	s_cbranch_vccnz .LBB0_69
; %bb.68:
	v_cvt_f32_u32_e32 v0, s60
	s_sub_i32 s5, 0, s60
	v_rcp_iflag_f32_e32 v0, v0
	v_mul_f32_e32 v0, 0x4f7ffffe, v0
	v_cvt_u32_f32_e32 v0, v0
	v_readfirstlane_b32 s7, v0
	s_mul_i32 s5, s5, s7
	s_mul_hi_u32 s5, s7, s5
	s_add_i32 s7, s7, s5
	s_mul_hi_u32 s5, s16, s7
	s_mul_i32 s10, s5, s60
	s_sub_i32 s10, s16, s10
	s_add_i32 s7, s5, 1
	s_sub_i32 s11, s10, s60
	s_cmp_ge_u32 s10, s60
	s_cselect_b32 s5, s7, s5
	s_cselect_b32 s10, s11, s10
	s_add_i32 s7, s5, 1
	s_cmp_ge_u32 s10, s60
	s_cselect_b32 s10, s7, s5
.LBB0_69:
	s_mul_i32 s5, s16, s63
	s_mul_hi_u32 s7, s16, s62
	s_add_i32 s7, s7, s5
	s_mul_i32 s5, s16, s62
	s_sub_u32 s11, s14, s5
	s_subb_u32 s15, s15, s7
	s_mul_i32 s5, s14, s65
	s_mul_hi_u32 s7, s14, s64
	s_add_i32 s7, s7, s5
	s_mul_i32 s5, s14, s64
	s_sub_u32 s14, s12, s5
	s_subb_u32 s13, s13, s7
	;; [unrolled: 6-line block ×6, first 2 shown]
	s_mul_i32 s1, s0, s43
	s_mul_hi_u32 s2, s0, s42
	s_add_i32 s2, s2, s1
	s_mul_i32 s0, s0, s42
	s_sub_u32 s21, s6, s0
	s_mul_i32 s0, s10, s61
	s_mul_hi_u32 s1, s10, s60
	s_subb_u32 s22, 0, s2
	s_add_i32 s1, s1, s0
	s_mul_i32 s0, s10, s60
	s_sub_u32 s16, s16, s0
	s_mul_i32 s2, s5, s55
	s_mul_hi_u32 s3, s5, s54
	s_subb_u32 s17, s17, s1
	s_mul_i32 s0, s4, s53
	s_mul_hi_u32 s1, s4, s52
	s_add_i32 s2, s3, s2
	s_mul_i32 s7, s7, s54
	s_add_i32 s1, s1, s0
	s_mul_i32 s0, s4, s52
	;; [unrolled: 2-line block ×3, first 2 shown]
	s_mul_i32 s4, s8, s57
	s_mul_hi_u32 s5, s8, s56
	s_add_i32 s4, s5, s4
	s_mul_i32 s9, s9, s56
	s_add_i32 s5, s4, s9
	s_mul_i32 s4, s8, s56
	s_mul_i32 s8, s21, s73
	s_mul_hi_u32 s9, s21, s72
	s_mul_i32 s6, s20, s59
	s_mul_hi_u32 s7, s20, s58
	s_add_i32 s8, s9, s8
	s_mul_i32 s22, s22, s72
	s_add_i32 s6, s7, s6
	s_mul_i32 s19, s19, s58
	;; [unrolled: 2-line block ×3, first 2 shown]
	s_add_i32 s7, s6, s19
	s_lshl_b64 s[8:9], s[8:9], 2
	s_mul_i32 s6, s20, s58
	s_add_u32 s8, s26, s8
	s_addc_u32 s9, s27, s9
	s_lshl_b64 s[6:7], s[6:7], 2
	s_add_u32 s6, s8, s6
	s_addc_u32 s7, s9, s7
	s_lshl_b64 s[4:5], s[4:5], 2
	v_mov_b32_e32 v2, 0
	s_add_u32 s4, s6, s4
	ds_read_b64 v[0:1], v2 offset:8192
	ds_read_b32 v3, v2 offset:8200
	s_addc_u32 s5, s7, s5
	s_lshl_b64 s[2:3], s[2:3], 2
	s_add_u32 s2, s4, s2
	s_addc_u32 s3, s5, s3
	s_lshl_b64 s[0:1], s[0:1], 2
	s_add_u32 s0, s2, s0
	s_mul_i32 s8, s12, s35
	s_mul_hi_u32 s9, s12, s34
	s_addc_u32 s1, s3, s1
	s_mul_i32 s2, s16, s47
	s_mul_hi_u32 s3, s16, s46
	s_mul_i32 s4, s11, s49
	s_mul_hi_u32 s5, s11, s48
	;; [unrolled: 2-line block ×3, first 2 shown]
	s_add_i32 s8, s9, s8
	s_mul_i32 s18, s18, s34
	s_waitcnt lgkmcnt(0)
	global_store_dword v2, v3, s[0:1]
	s_mul_i32 s0, s10, s45
	s_mul_hi_u32 s1, s10, s44
	s_add_i32 s2, s3, s2
	s_mul_i32 s17, s17, s46
	s_add_i32 s4, s5, s4
	s_mul_i32 s15, s15, s48
	;; [unrolled: 2-line block ×4, first 2 shown]
	s_add_i32 s1, s1, s0
	s_add_i32 s3, s2, s17
	;; [unrolled: 1-line block ×4, first 2 shown]
	s_lshl_b64 s[8:9], s[8:9], 3
	s_mul_i32 s6, s14, s50
	s_add_u32 s8, s28, s8
	s_addc_u32 s9, s29, s9
	s_lshl_b64 s[6:7], s[6:7], 3
	s_mul_i32 s4, s11, s48
	s_add_u32 s6, s8, s6
	s_addc_u32 s7, s9, s7
	;; [unrolled: 4-line block ×4, first 2 shown]
	s_lshl_b64 s[0:1], s[0:1], 3
	s_add_u32 s0, s2, s0
	s_addc_u32 s1, s3, s1
	global_store_dwordx2 v2, v[0:1], s[0:1]
.LBB0_70:
	s_endpgm
	.section	.rodata,"a",@progbits
	.p2align	6, 0x0
	.amdhsa_kernel KthvalueFwd
		.amdhsa_group_segment_fixed_size 8208
		.amdhsa_private_segment_fixed_size 0
		.amdhsa_kernarg_size 280
		.amdhsa_user_sgpr_count 6
		.amdhsa_user_sgpr_private_segment_buffer 1
		.amdhsa_user_sgpr_dispatch_ptr 0
		.amdhsa_user_sgpr_queue_ptr 0
		.amdhsa_user_sgpr_kernarg_segment_ptr 1
		.amdhsa_user_sgpr_dispatch_id 0
		.amdhsa_user_sgpr_flat_scratch_init 0
		.amdhsa_user_sgpr_private_segment_size 0
		.amdhsa_uses_dynamic_stack 0
		.amdhsa_system_sgpr_private_segment_wavefront_offset 0
		.amdhsa_system_sgpr_workgroup_id_x 1
		.amdhsa_system_sgpr_workgroup_id_y 0
		.amdhsa_system_sgpr_workgroup_id_z 0
		.amdhsa_system_sgpr_workgroup_info 0
		.amdhsa_system_vgpr_workitem_id 0
		.amdhsa_next_free_vgpr 29
		.amdhsa_next_free_sgpr 82
		.amdhsa_reserve_vcc 1
		.amdhsa_reserve_flat_scratch 0
		.amdhsa_float_round_mode_32 0
		.amdhsa_float_round_mode_16_64 0
		.amdhsa_float_denorm_mode_32 3
		.amdhsa_float_denorm_mode_16_64 3
		.amdhsa_dx10_clamp 1
		.amdhsa_ieee_mode 1
		.amdhsa_fp16_overflow 0
		.amdhsa_exception_fp_ieee_invalid_op 0
		.amdhsa_exception_fp_denorm_src 0
		.amdhsa_exception_fp_ieee_div_zero 0
		.amdhsa_exception_fp_ieee_overflow 0
		.amdhsa_exception_fp_ieee_underflow 0
		.amdhsa_exception_fp_ieee_inexact 0
		.amdhsa_exception_int_div_zero 0
	.end_amdhsa_kernel
	.text
.Lfunc_end0:
	.size	KthvalueFwd, .Lfunc_end0-KthvalueFwd
                                        ; -- End function
	.set KthvalueFwd.num_vgpr, 29
	.set KthvalueFwd.num_agpr, 0
	.set KthvalueFwd.numbered_sgpr, 82
	.set KthvalueFwd.num_named_barrier, 0
	.set KthvalueFwd.private_seg_size, 0
	.set KthvalueFwd.uses_vcc, 1
	.set KthvalueFwd.uses_flat_scratch, 0
	.set KthvalueFwd.has_dyn_sized_stack, 0
	.set KthvalueFwd.has_recursion, 0
	.set KthvalueFwd.has_indirect_call, 0
	.section	.AMDGPU.csdata,"",@progbits
; Kernel info:
; codeLenInByte = 4036
; TotalNumSgprs: 86
; NumVgprs: 29
; ScratchSize: 0
; MemoryBound: 0
; FloatMode: 240
; IeeeMode: 1
; LDSByteSize: 8208 bytes/workgroup (compile time only)
; SGPRBlocks: 10
; VGPRBlocks: 7
; NumSGPRsForWavesPerEU: 86
; NumVGPRsForWavesPerEU: 29
; Occupancy: 8
; WaveLimiterHint : 1
; COMPUTE_PGM_RSRC2:SCRATCH_EN: 0
; COMPUTE_PGM_RSRC2:USER_SGPR: 6
; COMPUTE_PGM_RSRC2:TRAP_HANDLER: 0
; COMPUTE_PGM_RSRC2:TGID_X_EN: 1
; COMPUTE_PGM_RSRC2:TGID_Y_EN: 0
; COMPUTE_PGM_RSRC2:TGID_Z_EN: 0
; COMPUTE_PGM_RSRC2:TIDIG_COMP_CNT: 0
	.section	.AMDGPU.gpr_maximums,"",@progbits
	.set amdgpu.max_num_vgpr, 0
	.set amdgpu.max_num_agpr, 0
	.set amdgpu.max_num_sgpr, 0
	.section	.AMDGPU.csdata,"",@progbits
	.type	__hip_cuid_c8b0a254f0259b22,@object ; @__hip_cuid_c8b0a254f0259b22
	.section	.bss,"aw",@nobits
	.globl	__hip_cuid_c8b0a254f0259b22
__hip_cuid_c8b0a254f0259b22:
	.byte	0                               ; 0x0
	.size	__hip_cuid_c8b0a254f0259b22, 1

	.ident	"AMD clang version 22.0.0git (https://github.com/RadeonOpenCompute/llvm-project roc-7.2.4 26084 f58b06dce1f9c15707c5f808fd002e18c2accf7e)"
	.section	".note.GNU-stack","",@progbits
	.addrsig
	.addrsig_sym __hip_cuid_c8b0a254f0259b22
	.amdgpu_metadata
---
amdhsa.kernels:
  - .args:
      - .address_space:  global
        .offset:         0
        .size:           8
        .value_kind:     global_buffer
      - .address_space:  global
        .offset:         8
        .size:           8
        .value_kind:     global_buffer
      - .address_space:  global
        .offset:         16
        .size:           8
        .value_kind:     global_buffer
      - .offset:         24
        .size:           8
        .value_kind:     by_value
      - .offset:         32
        .size:           8
        .value_kind:     by_value
      - .offset:         40
        .size:           8
        .value_kind:     by_value
      - .offset:         48
        .size:           8
        .value_kind:     by_value
      - .offset:         56
        .size:           64
        .value_kind:     by_value
      - .offset:         120
        .size:           80
        .value_kind:     by_value
      - .offset:         200
        .size:           80
        .value_kind:     by_value
    .group_segment_fixed_size: 8208
    .kernarg_segment_align: 8
    .kernarg_segment_size: 280
    .language:       OpenCL C
    .language_version:
      - 2
      - 0
    .max_flat_workgroup_size: 1024
    .name:           KthvalueFwd
    .private_segment_fixed_size: 0
    .sgpr_count:     86
    .sgpr_spill_count: 0
    .symbol:         KthvalueFwd.kd
    .uniform_work_group_size: 1
    .uses_dynamic_stack: false
    .vgpr_count:     29
    .vgpr_spill_count: 0
    .wavefront_size: 64
amdhsa.target:   amdgcn-amd-amdhsa--gfx906
amdhsa.version:
  - 1
  - 2
...

	.end_amdgpu_metadata
